;; amdgpu-corpus repo=ROCm/rocFFT kind=compiled arch=gfx1030 opt=O3
	.text
	.amdgcn_target "amdgcn-amd-amdhsa--gfx1030"
	.amdhsa_code_object_version 6
	.protected	fft_rtc_back_len800_factors_16_5_10_wgs_160_tpt_160_halfLds_dp_op_CI_CI_sbrr_dirReg ; -- Begin function fft_rtc_back_len800_factors_16_5_10_wgs_160_tpt_160_halfLds_dp_op_CI_CI_sbrr_dirReg
	.globl	fft_rtc_back_len800_factors_16_5_10_wgs_160_tpt_160_halfLds_dp_op_CI_CI_sbrr_dirReg
	.p2align	8
	.type	fft_rtc_back_len800_factors_16_5_10_wgs_160_tpt_160_halfLds_dp_op_CI_CI_sbrr_dirReg,@function
fft_rtc_back_len800_factors_16_5_10_wgs_160_tpt_160_halfLds_dp_op_CI_CI_sbrr_dirReg: ; @fft_rtc_back_len800_factors_16_5_10_wgs_160_tpt_160_halfLds_dp_op_CI_CI_sbrr_dirReg
; %bb.0:
	s_clause 0x2
	s_load_dwordx4 s[16:19], s[4:5], 0x18
	s_load_dwordx4 s[8:11], s[4:5], 0x0
	;; [unrolled: 1-line block ×3, first 2 shown]
	v_mul_u32_u24_e32 v2, 0x19a, v0
	v_mov_b32_e32 v1, 0
	v_mov_b32_e32 v4, 0
	;; [unrolled: 1-line block ×3, first 2 shown]
	s_waitcnt lgkmcnt(0)
	s_load_dwordx2 s[20:21], s[16:17], 0x0
	s_load_dwordx2 s[2:3], s[18:19], 0x0
	v_cmp_lt_u64_e64 s0, s[10:11], 2
	v_add_nc_u32_sdwa v6, s6, v2 dst_sel:DWORD dst_unused:UNUSED_PAD src0_sel:DWORD src1_sel:WORD_1
	v_mov_b32_e32 v7, v1
	s_and_b32 vcc_lo, exec_lo, s0
	s_cbranch_vccnz .LBB0_8
; %bb.1:
	s_load_dwordx2 s[0:1], s[4:5], 0x10
	v_mov_b32_e32 v4, 0
	v_mov_b32_e32 v5, 0
	s_add_u32 s6, s18, 8
	s_addc_u32 s7, s19, 0
	s_add_u32 s22, s16, 8
	s_addc_u32 s23, s17, 0
	v_mov_b32_e32 v67, v5
	v_mov_b32_e32 v66, v4
	s_mov_b64 s[26:27], 1
	s_waitcnt lgkmcnt(0)
	s_add_u32 s24, s0, 8
	s_addc_u32 s25, s1, 0
.LBB0_2:                                ; =>This Inner Loop Header: Depth=1
	s_load_dwordx2 s[28:29], s[24:25], 0x0
                                        ; implicit-def: $vgpr68_vgpr69
	s_mov_b32 s0, exec_lo
	s_waitcnt lgkmcnt(0)
	v_or_b32_e32 v2, s29, v7
	v_cmpx_ne_u64_e32 0, v[1:2]
	s_xor_b32 s1, exec_lo, s0
	s_cbranch_execz .LBB0_4
; %bb.3:                                ;   in Loop: Header=BB0_2 Depth=1
	v_cvt_f32_u32_e32 v2, s28
	v_cvt_f32_u32_e32 v3, s29
	s_sub_u32 s0, 0, s28
	s_subb_u32 s30, 0, s29
	v_fmac_f32_e32 v2, 0x4f800000, v3
	v_rcp_f32_e32 v2, v2
	v_mul_f32_e32 v2, 0x5f7ffffc, v2
	v_mul_f32_e32 v3, 0x2f800000, v2
	v_trunc_f32_e32 v3, v3
	v_fmac_f32_e32 v2, 0xcf800000, v3
	v_cvt_u32_f32_e32 v3, v3
	v_cvt_u32_f32_e32 v2, v2
	v_mul_lo_u32 v8, s0, v3
	v_mul_hi_u32 v9, s0, v2
	v_mul_lo_u32 v10, s30, v2
	v_add_nc_u32_e32 v8, v9, v8
	v_mul_lo_u32 v9, s0, v2
	v_add_nc_u32_e32 v8, v8, v10
	v_mul_hi_u32 v10, v2, v9
	v_mul_lo_u32 v11, v2, v8
	v_mul_hi_u32 v12, v2, v8
	v_mul_hi_u32 v13, v3, v9
	v_mul_lo_u32 v9, v3, v9
	v_mul_hi_u32 v14, v3, v8
	v_mul_lo_u32 v8, v3, v8
	v_add_co_u32 v10, vcc_lo, v10, v11
	v_add_co_ci_u32_e32 v11, vcc_lo, 0, v12, vcc_lo
	v_add_co_u32 v9, vcc_lo, v10, v9
	v_add_co_ci_u32_e32 v9, vcc_lo, v11, v13, vcc_lo
	v_add_co_ci_u32_e32 v10, vcc_lo, 0, v14, vcc_lo
	v_add_co_u32 v8, vcc_lo, v9, v8
	v_add_co_ci_u32_e32 v9, vcc_lo, 0, v10, vcc_lo
	v_add_co_u32 v2, vcc_lo, v2, v8
	v_add_co_ci_u32_e32 v3, vcc_lo, v3, v9, vcc_lo
	v_mul_hi_u32 v8, s0, v2
	v_mul_lo_u32 v10, s30, v2
	v_mul_lo_u32 v9, s0, v3
	v_add_nc_u32_e32 v8, v8, v9
	v_mul_lo_u32 v9, s0, v2
	v_add_nc_u32_e32 v8, v8, v10
	v_mul_hi_u32 v10, v2, v9
	v_mul_lo_u32 v11, v2, v8
	v_mul_hi_u32 v12, v2, v8
	v_mul_hi_u32 v13, v3, v9
	v_mul_lo_u32 v9, v3, v9
	v_mul_hi_u32 v14, v3, v8
	v_mul_lo_u32 v8, v3, v8
	v_add_co_u32 v10, vcc_lo, v10, v11
	v_add_co_ci_u32_e32 v11, vcc_lo, 0, v12, vcc_lo
	v_add_co_u32 v9, vcc_lo, v10, v9
	v_add_co_ci_u32_e32 v9, vcc_lo, v11, v13, vcc_lo
	v_add_co_ci_u32_e32 v10, vcc_lo, 0, v14, vcc_lo
	v_add_co_u32 v8, vcc_lo, v9, v8
	v_add_co_ci_u32_e32 v9, vcc_lo, 0, v10, vcc_lo
	v_add_co_u32 v8, vcc_lo, v2, v8
	v_add_co_ci_u32_e32 v10, vcc_lo, v3, v9, vcc_lo
	v_mul_hi_u32 v12, v6, v8
	v_mad_u64_u32 v[8:9], null, v7, v8, 0
	v_mad_u64_u32 v[2:3], null, v6, v10, 0
	v_mad_u64_u32 v[10:11], null, v7, v10, 0
	v_add_co_u32 v2, vcc_lo, v12, v2
	v_add_co_ci_u32_e32 v3, vcc_lo, 0, v3, vcc_lo
	v_add_co_u32 v2, vcc_lo, v2, v8
	v_add_co_ci_u32_e32 v2, vcc_lo, v3, v9, vcc_lo
	v_add_co_ci_u32_e32 v3, vcc_lo, 0, v11, vcc_lo
	v_add_co_u32 v8, vcc_lo, v2, v10
	v_add_co_ci_u32_e32 v9, vcc_lo, 0, v3, vcc_lo
	v_mul_lo_u32 v10, s29, v8
	v_mad_u64_u32 v[2:3], null, s28, v8, 0
	v_mul_lo_u32 v11, s28, v9
	v_sub_co_u32 v2, vcc_lo, v6, v2
	v_add3_u32 v3, v3, v11, v10
	v_sub_nc_u32_e32 v10, v7, v3
	v_subrev_co_ci_u32_e64 v10, s0, s29, v10, vcc_lo
	v_add_co_u32 v11, s0, v8, 2
	v_add_co_ci_u32_e64 v12, s0, 0, v9, s0
	v_sub_co_u32 v13, s0, v2, s28
	v_sub_co_ci_u32_e32 v3, vcc_lo, v7, v3, vcc_lo
	v_subrev_co_ci_u32_e64 v10, s0, 0, v10, s0
	v_cmp_le_u32_e32 vcc_lo, s28, v13
	v_cmp_eq_u32_e64 s0, s29, v3
	v_cndmask_b32_e64 v13, 0, -1, vcc_lo
	v_cmp_le_u32_e32 vcc_lo, s29, v10
	v_cndmask_b32_e64 v14, 0, -1, vcc_lo
	v_cmp_le_u32_e32 vcc_lo, s28, v2
	;; [unrolled: 2-line block ×3, first 2 shown]
	v_cndmask_b32_e64 v15, 0, -1, vcc_lo
	v_cmp_eq_u32_e32 vcc_lo, s29, v10
	v_cndmask_b32_e64 v2, v15, v2, s0
	v_cndmask_b32_e32 v10, v14, v13, vcc_lo
	v_add_co_u32 v13, vcc_lo, v8, 1
	v_add_co_ci_u32_e32 v14, vcc_lo, 0, v9, vcc_lo
	v_cmp_ne_u32_e32 vcc_lo, 0, v10
	v_cndmask_b32_e32 v3, v14, v12, vcc_lo
	v_cndmask_b32_e32 v10, v13, v11, vcc_lo
	v_cmp_ne_u32_e32 vcc_lo, 0, v2
	v_cndmask_b32_e32 v69, v9, v3, vcc_lo
	v_cndmask_b32_e32 v68, v8, v10, vcc_lo
.LBB0_4:                                ;   in Loop: Header=BB0_2 Depth=1
	s_andn2_saveexec_b32 s0, s1
	s_cbranch_execz .LBB0_6
; %bb.5:                                ;   in Loop: Header=BB0_2 Depth=1
	v_cvt_f32_u32_e32 v2, s28
	s_sub_i32 s1, 0, s28
	v_mov_b32_e32 v69, v1
	v_rcp_iflag_f32_e32 v2, v2
	v_mul_f32_e32 v2, 0x4f7ffffe, v2
	v_cvt_u32_f32_e32 v2, v2
	v_mul_lo_u32 v3, s1, v2
	v_mul_hi_u32 v3, v2, v3
	v_add_nc_u32_e32 v2, v2, v3
	v_mul_hi_u32 v2, v6, v2
	v_mul_lo_u32 v3, v2, s28
	v_add_nc_u32_e32 v8, 1, v2
	v_sub_nc_u32_e32 v3, v6, v3
	v_subrev_nc_u32_e32 v9, s28, v3
	v_cmp_le_u32_e32 vcc_lo, s28, v3
	v_cndmask_b32_e32 v3, v3, v9, vcc_lo
	v_cndmask_b32_e32 v2, v2, v8, vcc_lo
	v_cmp_le_u32_e32 vcc_lo, s28, v3
	v_add_nc_u32_e32 v8, 1, v2
	v_cndmask_b32_e32 v68, v2, v8, vcc_lo
.LBB0_6:                                ;   in Loop: Header=BB0_2 Depth=1
	s_or_b32 exec_lo, exec_lo, s0
	v_mul_lo_u32 v8, v69, s28
	v_mul_lo_u32 v9, v68, s29
	s_load_dwordx2 s[0:1], s[22:23], 0x0
	v_mad_u64_u32 v[2:3], null, v68, s28, 0
	s_load_dwordx2 s[28:29], s[6:7], 0x0
	s_add_u32 s26, s26, 1
	s_addc_u32 s27, s27, 0
	s_add_u32 s6, s6, 8
	s_addc_u32 s7, s7, 0
	s_add_u32 s22, s22, 8
	v_add3_u32 v3, v3, v9, v8
	v_sub_co_u32 v2, vcc_lo, v6, v2
	s_addc_u32 s23, s23, 0
	s_add_u32 s24, s24, 8
	v_sub_co_ci_u32_e32 v3, vcc_lo, v7, v3, vcc_lo
	s_addc_u32 s25, s25, 0
	s_waitcnt lgkmcnt(0)
	v_mul_lo_u32 v6, s0, v3
	v_mul_lo_u32 v7, s1, v2
	v_mad_u64_u32 v[4:5], null, s0, v2, v[4:5]
	v_mul_lo_u32 v3, s28, v3
	v_mul_lo_u32 v8, s29, v2
	v_mad_u64_u32 v[66:67], null, s28, v2, v[66:67]
	v_cmp_ge_u64_e64 s0, s[26:27], s[10:11]
	v_add3_u32 v5, v7, v5, v6
	v_add3_u32 v67, v8, v67, v3
	s_and_b32 vcc_lo, exec_lo, s0
	s_cbranch_vccnz .LBB0_9
; %bb.7:                                ;   in Loop: Header=BB0_2 Depth=1
	v_mov_b32_e32 v6, v68
	v_mov_b32_e32 v7, v69
	s_branch .LBB0_2
.LBB0_8:
	v_mov_b32_e32 v67, v5
	v_mov_b32_e32 v69, v7
	;; [unrolled: 1-line block ×4, first 2 shown]
.LBB0_9:
	s_load_dwordx2 s[0:1], s[4:5], 0x28
	v_mul_hi_u32 v1, 0x199999a, v0
	s_lshl_b64 s[6:7], s[10:11], 3
                                        ; implicit-def: $vgpr2_vgpr3
                                        ; implicit-def: $vgpr28_vgpr29
                                        ; implicit-def: $vgpr24_vgpr25
                                        ; implicit-def: $vgpr16_vgpr17
                                        ; implicit-def: $vgpr6_vgpr7
                                        ; implicit-def: $vgpr36_vgpr37
                                        ; implicit-def: $vgpr20_vgpr21
                                        ; implicit-def: $vgpr48_vgpr49
                                        ; implicit-def: $vgpr44_vgpr45
                                        ; implicit-def: $vgpr52_vgpr53
                                        ; implicit-def: $vgpr56_vgpr57
                                        ; implicit-def: $vgpr60_vgpr61
                                        ; implicit-def: $vgpr64_vgpr65
                                        ; implicit-def: $vgpr40_vgpr41
                                        ; implicit-def: $vgpr32_vgpr33
                                        ; implicit-def: $vgpr12_vgpr13
	s_add_u32 s4, s18, s6
	s_addc_u32 s5, s19, s7
	v_mul_u32_u24_e32 v1, 0xa0, v1
	v_sub_nc_u32_e32 v88, v0, v1
	v_add_nc_u32_e32 v89, 0x190, v88
	s_waitcnt lgkmcnt(0)
	v_cmp_gt_u64_e32 vcc_lo, s[0:1], v[68:69]
	v_cmp_gt_u32_e64 s0, 50, v88
	s_and_b32 s1, vcc_lo, s0
	s_and_saveexec_b32 s10, s1
	s_cbranch_execz .LBB0_11
; %bb.10:
	s_add_u32 s6, s16, s6
	s_addc_u32 s7, s17, s7
	v_add_nc_u32_e32 v12, 50, v88
	s_load_dwordx2 s[6:7], s[6:7], 0x0
	v_add_nc_u32_e32 v16, 0x64, v88
	v_add_nc_u32_e32 v17, 0x96, v88
	v_mad_u64_u32 v[0:1], null, s20, v88, 0
	v_mad_u64_u32 v[2:3], null, s20, v12, 0
	v_mad_u64_u32 v[6:7], null, s20, v16, 0
	v_mad_u64_u32 v[14:15], null, s20, v17, 0
	v_lshlrev_b64 v[4:5], 4, v[4:5]
	v_add_nc_u32_e32 v19, 0xc8, v88
	v_mad_u64_u32 v[10:11], null, s21, v88, v[1:2]
	v_add_nc_u32_e32 v20, 0xfa, v88
	v_add_nc_u32_e32 v21, 0x12c, v88
	v_mov_b32_e32 v11, v15
	v_add_nc_u32_e32 v22, 0x15e, v88
	v_mad_u64_u32 v[32:33], null, s20, v89, 0
	s_waitcnt lgkmcnt(0)
	v_mul_lo_u32 v13, s7, v68
	v_mul_lo_u32 v18, s6, v69
	v_mad_u64_u32 v[8:9], null, s6, v68, 0
	v_mov_b32_e32 v1, v10
	v_add_nc_u32_e32 v36, 0x1c2, v88
	v_add_nc_u32_e32 v38, 0x1f4, v88
	;; [unrolled: 1-line block ×4, first 2 shown]
	v_lshlrev_b64 v[0:1], 4, v[0:1]
	v_add3_u32 v9, v9, v18, v13
	v_mad_u64_u32 v[12:13], null, s21, v12, v[3:4]
	v_mad_u64_u32 v[34:35], null, s20, v38, 0
	v_lshlrev_b64 v[8:9], 4, v[8:9]
	v_add_nc_u32_e32 v54, 0x2ee, v88
	v_mov_b32_e32 v3, v12
	v_mad_u64_u32 v[15:16], null, s21, v16, v[7:8]
	v_add_co_u32 v7, s1, s12, v8
	v_add_co_ci_u32_e64 v8, s1, s13, v9, s1
	v_lshlrev_b64 v[2:3], 4, v[2:3]
	v_add_co_u32 v56, s1, v7, v4
	v_add_co_ci_u32_e64 v57, s1, v8, v5, s1
	v_mad_u64_u32 v[4:5], null, s21, v17, v[11:12]
	v_mad_u64_u32 v[8:9], null, s20, v19, 0
	;; [unrolled: 1-line block ×3, first 2 shown]
	v_mov_b32_e32 v7, v15
	v_add_co_u32 v0, s1, v56, v0
	v_mov_b32_e32 v15, v4
	v_add_co_ci_u32_e64 v1, s1, v57, v1, s1
	v_lshlrev_b64 v[4:5], 4, v[6:7]
	v_mov_b32_e32 v6, v9
	v_mov_b32_e32 v7, v17
	v_add_co_u32 v2, s1, v56, v2
	v_lshlrev_b64 v[14:15], 4, v[14:15]
	v_add_co_ci_u32_e64 v3, s1, v57, v3, s1
	v_mad_u64_u32 v[17:18], null, s21, v19, v[6:7]
	v_mad_u64_u32 v[6:7], null, s21, v20, v[7:8]
	;; [unrolled: 1-line block ×3, first 2 shown]
	v_add_co_u32 v4, s1, v56, v4
	v_mov_b32_e32 v9, v17
	v_add_co_ci_u32_e64 v5, s1, v57, v5, s1
	v_mov_b32_e32 v17, v6
	v_add_co_u32 v6, s1, v56, v14
	v_add_co_ci_u32_e64 v7, s1, v57, v15, s1
	v_lshlrev_b64 v[15:16], 4, v[16:17]
	v_mov_b32_e32 v14, v19
	v_lshlrev_b64 v[8:9], 4, v[8:9]
	s_clause 0x1
	global_load_dwordx4 v[10:13], v[0:1], off
	global_load_dwordx4 v[0:3], v[2:3], off
	v_mad_u64_u32 v[49:50], null, s20, v54, 0
	v_mad_u64_u32 v[19:20], null, s21, v21, v[14:15]
	;; [unrolled: 1-line block ×3, first 2 shown]
	v_add_co_u32 v8, s1, v56, v8
	v_add_co_ci_u32_e64 v9, s1, v57, v9, s1
	v_add_co_u32 v30, s1, v56, v15
	v_mov_b32_e32 v14, v21
	v_add_co_ci_u32_e64 v31, s1, v57, v16, s1
	v_mad_u64_u32 v[21:22], null, s21, v22, v[14:15]
	s_clause 0x3
	global_load_dwordx4 v[26:29], v[4:5], off
	global_load_dwordx4 v[22:25], v[6:7], off
	;; [unrolled: 1-line block ×4, first 2 shown]
	v_mad_u64_u32 v[30:31], null, s20, v36, 0
	v_lshlrev_b64 v[8:9], 4, v[18:19]
	v_mov_b32_e32 v18, v33
	v_mad_u64_u32 v[18:19], null, s21, v89, v[18:19]
	v_lshlrev_b64 v[19:20], 4, v[20:21]
	v_mov_b32_e32 v21, v31
	v_add_co_u32 v8, s1, v56, v8
	v_add_co_ci_u32_e64 v9, s1, v57, v9, s1
	v_mov_b32_e32 v33, v18
	v_add_co_u32 v18, s1, v56, v19
	v_add_co_ci_u32_e64 v19, s1, v57, v20, s1
	s_waitcnt vmcnt(2)
	v_mad_u64_u32 v[36:37], null, s21, v36, v[21:22]
	v_lshlrev_b64 v[20:21], 4, v[32:33]
	v_mov_b32_e32 v32, v35
	v_mov_b32_e32 v31, v36
	v_mad_u64_u32 v[36:37], null, s20, v40, 0
	v_mad_u64_u32 v[32:33], null, s21, v38, v[32:33]
	v_lshlrev_b64 v[30:31], 4, v[30:31]
	v_mad_u64_u32 v[38:39], null, s20, v43, 0
	v_add_co_u32 v20, s1, v56, v20
	v_mov_b32_e32 v33, v37
	v_mov_b32_e32 v35, v32
	v_add_co_ci_u32_e64 v21, s1, v57, v21, s1
	v_mov_b32_e32 v32, v39
	v_mad_u64_u32 v[40:41], null, s21, v40, v[33:34]
	v_add_co_u32 v41, s1, v56, v30
	v_add_co_ci_u32_e64 v42, s1, v57, v31, s1
	v_lshlrev_b64 v[30:31], 4, v[34:35]
	v_add_nc_u32_e32 v34, 0x28a, v88
	v_mad_u64_u32 v[32:33], null, s21, v43, v[32:33]
	v_add_nc_u32_e32 v35, 0x2bc, v88
	v_mov_b32_e32 v37, v40
	v_mad_u64_u32 v[43:44], null, s20, v34, 0
	v_add_co_u32 v47, s1, v56, v30
	v_mad_u64_u32 v[45:46], null, s20, v35, 0
	v_add_co_ci_u32_e64 v48, s1, v57, v31, s1
	v_mov_b32_e32 v33, v44
	v_lshlrev_b64 v[30:31], 4, v[36:37]
	v_mov_b32_e32 v39, v32
	v_mov_b32_e32 v40, v50
	;; [unrolled: 1-line block ×3, first 2 shown]
	v_mad_u64_u32 v[33:34], null, s21, v34, v[33:34]
	v_lshlrev_b64 v[38:39], 4, v[38:39]
	v_mad_u64_u32 v[51:52], null, s21, v35, v[32:33]
	v_add_co_u32 v52, s1, v56, v30
	v_add_co_ci_u32_e64 v53, s1, v57, v31, s1
	v_mov_b32_e32 v44, v33
	s_clause 0x1
	global_load_dwordx4 v[30:33], v[8:9], off
	global_load_dwordx4 v[34:37], v[18:19], off
	v_mad_u64_u32 v[8:9], null, s21, v54, v[40:41]
	v_mov_b32_e32 v46, v51
	v_lshlrev_b64 v[43:44], 4, v[43:44]
	v_add_co_u32 v54, s1, v56, v38
	v_add_co_ci_u32_e64 v55, s1, v57, v39, s1
	v_mov_b32_e32 v50, v8
	v_lshlrev_b64 v[45:46], 4, v[45:46]
	s_clause 0x1
	global_load_dwordx4 v[18:21], v[20:21], off
	global_load_dwordx4 v[38:41], v[41:42], off
	v_add_co_u32 v8, s1, v56, v43
	v_lshlrev_b64 v[42:43], 4, v[49:50]
	v_add_co_ci_u32_e64 v9, s1, v57, v44, s1
	v_add_co_u32 v58, s1, v56, v45
	v_add_co_ci_u32_e64 v59, s1, v57, v46, s1
	v_add_co_u32 v62, s1, v56, v42
	v_add_co_ci_u32_e64 v63, s1, v57, v43, s1
	s_clause 0x5
	global_load_dwordx4 v[46:49], v[47:48], off
	global_load_dwordx4 v[42:45], v[52:53], off
	;; [unrolled: 1-line block ×6, first 2 shown]
.LBB0_11:
	s_or_b32 exec_lo, exec_lo, s10
	s_waitcnt vmcnt(6)
	v_add_f64 v[70:71], v[0:1], -v[38:39]
	s_waitcnt vmcnt(5)
	v_add_f64 v[46:47], v[26:27], -v[46:47]
	;; [unrolled: 2-line block ×3, first 2 shown]
	v_add_f64 v[56:57], v[6:7], -v[56:57]
	v_add_f64 v[38:39], v[16:17], -v[52:53]
	;; [unrolled: 1-line block ×4, first 2 shown]
	s_waitcnt vmcnt(0)
	v_add_f64 v[64:65], v[36:37], -v[64:65]
	v_add_f64 v[48:49], v[28:29], -v[48:49]
	;; [unrolled: 1-line block ×8, first 2 shown]
	s_mov_b32 s16, 0x667f3bcd
	s_mov_b32 s17, 0x3fe6a09e
	;; [unrolled: 1-line block ×7, first 2 shown]
	v_fma_f64 v[0:1], v[0:1], 2.0, -v[70:71]
	v_fma_f64 v[78:79], v[26:27], 2.0, -v[46:47]
	v_add_f64 v[74:75], v[46:47], v[60:61]
	v_add_f64 v[50:51], v[56:57], v[70:71]
	v_fma_f64 v[6:7], v[6:7], 2.0, -v[56:57]
	v_add_f64 v[8:9], v[38:39], v[52:53]
	v_fma_f64 v[22:23], v[22:23], 2.0, -v[42:43]
	;; [unrolled: 2-line block ×3, first 2 shown]
	v_fma_f64 v[28:29], v[30:31], 2.0, -v[58:59]
	v_fma_f64 v[4:5], v[4:5], 2.0, -v[54:55]
	v_add_f64 v[90:91], v[72:73], -v[54:55]
	v_fma_f64 v[24:25], v[24:25], 2.0, -v[44:45]
	v_add_f64 v[30:31], v[44:45], -v[62:63]
	v_fma_f64 v[26:27], v[34:35], 2.0, -v[62:63]
	v_fma_f64 v[34:35], v[36:37], 2.0, -v[64:65]
	;; [unrolled: 1-line block ×3, first 2 shown]
	v_add_f64 v[62:63], v[48:49], -v[58:59]
	v_fma_f64 v[14:15], v[14:15], 2.0, -v[18:19]
	v_fma_f64 v[2:3], v[2:3], 2.0, -v[72:73]
	s_mov_b32 s11, 0x3fd87de2
	s_mov_b32 s13, 0x3fed906b
	;; [unrolled: 1-line block ×3, first 2 shown]
	v_fma_f64 v[92:93], v[46:47], 2.0, -v[74:75]
	v_fma_f64 v[58:59], v[70:71], 2.0, -v[50:51]
	;; [unrolled: 1-line block ×5, first 2 shown]
	v_fma_f64 v[46:47], v[76:77], s[16:17], v[50:51]
	v_add_f64 v[4:5], v[0:1], -v[4:5]
	v_fma_f64 v[56:57], v[72:73], 2.0, -v[90:91]
	v_add_f64 v[32:33], v[78:79], -v[28:29]
	v_fma_f64 v[44:45], v[44:45], 2.0, -v[30:31]
	v_add_f64 v[52:53], v[22:23], -v[26:27]
	v_add_f64 v[60:61], v[24:25], -v[34:35]
	v_fma_f64 v[70:71], v[30:31], s[16:17], v[90:91]
	v_fma_f64 v[48:49], v[48:49], 2.0, -v[62:63]
	v_add_f64 v[26:27], v[10:11], -v[14:15]
	v_add_f64 v[6:7], v[2:3], -v[6:7]
	v_fma_f64 v[28:29], v[92:93], s[18:19], v[64:65]
	v_fma_f64 v[54:55], v[36:37], s[18:19], v[58:59]
	v_add_f64 v[34:35], v[40:41], -v[42:43]
	v_fma_f64 v[42:43], v[74:75], s[16:17], v[8:9]
	v_fma_f64 v[14:15], v[30:31], s[16:17], v[46:47]
	v_fma_f64 v[0:1], v[0:1], 2.0, -v[4:5]
	v_fma_f64 v[72:73], v[78:79], 2.0, -v[32:33]
	v_fma_f64 v[30:31], v[44:45], s[18:19], v[56:57]
	v_fma_f64 v[22:23], v[22:23], 2.0, -v[52:53]
	v_add_f64 v[94:95], v[60:61], v[4:5]
	v_fma_f64 v[60:61], v[24:25], 2.0, -v[60:61]
	v_fma_f64 v[10:11], v[10:11], 2.0, -v[26:27]
	v_fma_f64 v[96:97], v[48:49], s[16:17], v[28:29]
	v_fma_f64 v[46:47], v[44:45], s[16:17], v[54:55]
	v_add_f64 v[82:83], v[34:35], v[26:27]
	v_fma_f64 v[84:85], v[62:63], s[16:17], v[42:43]
	v_fma_f64 v[54:55], v[76:77], s[18:19], v[70:71]
	v_add_f64 v[44:45], v[6:7], -v[52:53]
	v_mul_f64 v[70:71], v[74:75], s[16:17]
	v_fma_f64 v[52:53], v[36:37], s[18:19], v[30:31]
	v_add_f64 v[36:37], v[0:1], -v[22:23]
	v_mul_f64 v[74:75], v[62:63], s[16:17]
	v_mul_f64 v[76:77], v[48:49], s[16:17]
	v_add_f64 v[78:79], v[10:11], -v[72:73]
	v_mul_f64 v[72:73], v[92:93], s[16:17]
	v_fma_f64 v[80:81], v[64:65], 2.0, -v[96:97]
	v_fma_f64 v[30:31], v[58:59], 2.0, -v[46:47]
	v_fma_f64 v[22:23], v[94:95], s[16:17], v[82:83]
	v_fma_f64 v[28:29], v[14:15], s[12:13], v[84:85]
	;; [unrolled: 1-line block ×3, first 2 shown]
	v_fma_f64 v[58:59], v[2:3], 2.0, -v[6:7]
	v_fma_f64 v[2:3], v[4:5], 2.0, -v[94:95]
	;; [unrolled: 1-line block ×6, first 2 shown]
	v_mul_f64 v[64:65], v[44:45], s[16:17]
	v_fma_f64 v[86:87], v[10:11], 2.0, -v[78:79]
	v_fma_f64 v[6:7], v[30:31], s[6:7], v[80:81]
	v_fma_f64 v[22:23], v[44:45], s[16:17], v[22:23]
	;; [unrolled: 1-line block ×4, first 2 shown]
	v_add_f64 v[62:63], v[58:59], -v[60:61]
	v_fma_f64 v[42:43], v[50:51], 2.0, -v[14:15]
	v_mul_f64 v[60:61], v[94:95], s[16:17]
	v_mul_f64 v[44:45], v[2:3], s[16:17]
	v_mul_f64 v[50:51], v[4:5], s[16:17]
	v_add_f64 v[0:1], v[86:87], -v[0:1]
	v_fma_f64 v[2:3], v[56:57], s[10:11], v[6:7]
	v_fma_f64 v[4:5], v[82:83], 2.0, -v[22:23]
	v_fma_f64 v[6:7], v[84:85], 2.0, -v[24:25]
	;; [unrolled: 1-line block ×3, first 2 shown]
	s_and_saveexec_b32 s1, s0
	s_cbranch_execz .LBB0_13
; %bb.12:
	v_fma_f64 v[94:95], v[8:9], 2.0, -v[84:85]
	v_fma_f64 v[96:97], v[26:27], 2.0, -v[82:83]
	s_mov_b32 s17, 0xbfd87de2
	s_mov_b32 s16, s10
	v_add_f64 v[26:27], v[62:63], v[78:79]
	v_fma_f64 v[92:93], v[80:81], 2.0, -v[2:3]
	v_fma_f64 v[90:91], v[86:87], 2.0, -v[0:1]
	v_lshl_add_u32 v86, v88, 7, 0
	v_fma_f64 v[8:9], v[42:43], s[16:17], v[94:95]
	v_add_f64 v[82:83], v[96:97], -v[44:45]
	v_fma_f64 v[84:85], v[48:49], s[12:13], v[8:9]
	v_add_f64 v[82:83], v[50:51], v[82:83]
	v_fma_f64 v[8:9], v[78:79], 2.0, -v[26:27]
	v_fma_f64 v[80:81], v[94:95], 2.0, -v[84:85]
	;; [unrolled: 1-line block ×3, first 2 shown]
	ds_write_b128 v86, v[4:7] offset:48
	ds_write_b128 v86, v[0:3] offset:64
	ds_write_b128 v86, v[90:93]
	ds_write_b128 v86, v[26:29] offset:96
	ds_write_b128 v86, v[8:11] offset:32
	;; [unrolled: 1-line block ×5, first 2 shown]
.LBB0_13:
	s_or_b32 exec_lo, exec_lo, s1
	v_add_f64 v[8:9], v[12:13], -v[20:21]
	v_fma_f64 v[16:17], v[16:17], 2.0, -v[38:39]
	v_fma_f64 v[20:21], v[40:41], 2.0, -v[34:35]
	;; [unrolled: 1-line block ×3, first 2 shown]
	s_waitcnt lgkmcnt(0)
	s_barrier
	buffer_gl0_inv
	v_add_f64 v[78:79], v[8:9], -v[18:19]
	v_fma_f64 v[12:13], v[12:13], 2.0, -v[8:9]
	v_fma_f64 v[8:9], v[8:9], 2.0, -v[78:79]
	v_add_f64 v[80:81], v[12:13], -v[16:17]
	v_add_f64 v[16:17], v[78:79], v[74:75]
	v_add_f64 v[18:19], v[8:9], -v[76:77]
	v_fma_f64 v[12:13], v[12:13], 2.0, -v[80:81]
	v_add_f64 v[74:75], v[80:81], -v[32:33]
	v_add_f64 v[70:71], v[16:17], -v[70:71]
	;; [unrolled: 1-line block ×4, first 2 shown]
	v_add_f64 v[16:17], v[64:65], v[74:75]
	v_fma_f64 v[18:19], v[54:55], s[12:13], v[70:71]
	v_lshl_add_u32 v54, v88, 3, 0
	v_fma_f64 v[40:41], v[8:9], 2.0, -v[22:23]
	v_fma_f64 v[8:9], v[52:53], s[10:11], v[22:23]
	s_mov_b32 s11, 0xbfd87de2
	v_fma_f64 v[52:53], v[12:13], 2.0, -v[20:21]
	v_add_f64 v[32:33], v[16:17], -v[60:61]
	v_fma_f64 v[34:35], v[14:15], s[10:11], v[18:19]
	v_fma_f64 v[14:15], v[56:57], s[6:7], v[40:41]
	;; [unrolled: 1-line block ×3, first 2 shown]
	v_add_nc_u32_e32 v46, 0x800, v54
	v_add_f64 v[12:13], v[52:53], -v[24:25]
	v_fma_f64 v[16:17], v[74:75], 2.0, -v[32:33]
	v_fma_f64 v[18:19], v[70:71], 2.0, -v[34:35]
	v_fma_f64 v[14:15], v[30:31], s[10:11], v[14:15]
	v_fma_f64 v[22:23], v[22:23], 2.0, -v[38:39]
	ds_read2_b64 v[24:27], v54 offset1:160
	ds_read2_b64 v[28:31], v46 offset0:64 offset1:224
	ds_read_b64 v[8:9], v54 offset:5120
	s_waitcnt lgkmcnt(0)
	s_barrier
	buffer_gl0_inv
	s_and_saveexec_b32 s1, s0
	s_cbranch_execz .LBB0_15
; %bb.14:
	v_fma_f64 v[55:56], v[80:81], 2.0, -v[74:75]
	v_fma_f64 v[57:58], v[78:79], 2.0, -v[70:71]
	s_mov_b32 s10, 0xa6aea964
	v_add_f64 v[36:37], v[20:21], -v[36:37]
	v_add_f64 v[50:51], v[55:56], -v[50:51]
	v_fma_f64 v[59:60], v[48:49], s[10:11], v[57:58]
	v_fma_f64 v[20:21], v[20:21], 2.0, -v[36:37]
	v_add_f64 v[47:48], v[50:51], -v[44:45]
	v_fma_f64 v[49:50], v[42:43], s[6:7], v[59:60]
	v_fma_f64 v[42:43], v[52:53], 2.0, -v[12:13]
	v_fma_f64 v[44:45], v[40:41], 2.0, -v[14:15]
	v_mad_u32_u24 v40, 0x78, v88, v54
	v_fma_f64 v[55:56], v[55:56], 2.0, -v[47:48]
	v_fma_f64 v[57:58], v[57:58], 2.0, -v[49:50]
	ds_write_b128 v40, v[16:19] offset:48
	ds_write_b128 v40, v[12:15] offset:64
	ds_write_b128 v40, v[42:45]
	ds_write_b128 v40, v[36:39] offset:96
	ds_write_b128 v40, v[20:23] offset:32
	;; [unrolled: 1-line block ×5, first 2 shown]
.LBB0_15:
	s_or_b32 exec_lo, exec_lo, s1
	v_and_b32_e32 v63, 15, v88
	s_load_dwordx2 s[4:5], s[4:5], 0x0
	s_waitcnt lgkmcnt(0)
	s_barrier
	buffer_gl0_inv
	v_lshlrev_b32_e32 v20, 6, v63
	s_mov_b32 s6, 0x134454ff
	s_mov_b32 s7, 0xbfee6f0e
	;; [unrolled: 1-line block ×4, first 2 shown]
	s_clause 0x3
	global_load_dwordx4 v[36:39], v20, s[8:9] offset:16
	global_load_dwordx4 v[48:51], v20, s[8:9] offset:32
	global_load_dwordx4 v[55:58], v20, s[8:9]
	global_load_dwordx4 v[59:62], v20, s[8:9] offset:48
	ds_read2_b64 v[70:73], v46 offset0:64 offset1:224
	ds_read2_b64 v[32:35], v54 offset1:160
	ds_read_b64 v[20:21], v54 offset:5120
	s_mov_b32 s12, 0x4755a5e
	s_mov_b32 s13, 0xbfe2cf23
	;; [unrolled: 1-line block ×6, first 2 shown]
	v_cmp_gt_u32_e64 s0, 0x50, v88
	s_waitcnt vmcnt(0) lgkmcnt(0)
	s_barrier
	buffer_gl0_inv
	v_mul_f64 v[40:41], v[70:71], v[38:39]
	v_mul_f64 v[42:43], v[72:73], v[50:51]
	;; [unrolled: 1-line block ×8, first 2 shown]
	v_fma_f64 v[40:41], v[28:29], v[36:37], v[40:41]
	v_fma_f64 v[42:43], v[30:31], v[48:49], v[42:43]
	;; [unrolled: 1-line block ×4, first 2 shown]
	v_fma_f64 v[38:39], v[34:35], v[55:56], -v[52:53]
	v_fma_f64 v[36:37], v[70:71], v[36:37], -v[57:58]
	;; [unrolled: 1-line block ×4, first 2 shown]
	v_add_f64 v[8:9], v[40:41], v[42:43]
	v_add_f64 v[28:29], v[24:25], v[44:45]
	;; [unrolled: 1-line block ×3, first 2 shown]
	v_add_f64 v[50:51], v[46:47], -v[42:43]
	v_add_f64 v[52:53], v[40:41], -v[44:45]
	;; [unrolled: 1-line block ×5, first 2 shown]
	v_fma_f64 v[8:9], v[8:9], -0.5, v[24:25]
	v_add_f64 v[28:29], v[28:29], v[40:41]
	v_fma_f64 v[24:25], v[26:27], -0.5, v[24:25]
	v_add_f64 v[26:27], v[44:45], -v[40:41]
	v_add_f64 v[52:53], v[52:53], v[55:56]
	v_fma_f64 v[57:58], v[30:31], s[6:7], v[8:9]
	v_fma_f64 v[8:9], v[30:31], s[10:11], v[8:9]
	;; [unrolled: 1-line block ×4, first 2 shown]
	v_add_f64 v[50:51], v[26:27], v[50:51]
	v_add_f64 v[26:27], v[28:29], v[42:43]
	v_fma_f64 v[28:29], v[48:49], s[12:13], v[57:58]
	v_fma_f64 v[8:9], v[48:49], s[16:17], v[8:9]
	;; [unrolled: 1-line block ×4, first 2 shown]
	v_add_f64 v[24:25], v[26:27], v[46:47]
	v_fma_f64 v[26:27], v[50:51], s[18:19], v[28:29]
	v_fma_f64 v[8:9], v[50:51], s[18:19], v[8:9]
	;; [unrolled: 1-line block ×4, first 2 shown]
	v_lshrrev_b32_e32 v48, 4, v88
	v_mul_u32_u24_e32 v48, 0x50, v48
	v_or_b32_e32 v48, v48, v63
	v_lshl_add_u32 v48, v48, 3, 0
	ds_write2_b64 v48, v[24:25], v[26:27] offset1:16
	ds_write2_b64 v48, v[28:29], v[30:31] offset0:32 offset1:48
	ds_write_b64 v48, v[8:9] offset:512
	s_waitcnt lgkmcnt(0)
	s_barrier
	buffer_gl0_inv
	s_and_saveexec_b32 s1, s0
	s_cbranch_execz .LBB0_17
; %bb.16:
	v_add_nc_u32_e32 v0, 0x800, v54
	v_add_nc_u32_e32 v1, 0xc00, v54
	;; [unrolled: 1-line block ×3, first 2 shown]
	ds_read2_b64 v[24:27], v54 offset1:80
	ds_read2_b64 v[28:31], v54 offset0:160 offset1:240
	ds_read2_b64 v[8:11], v0 offset0:64 offset1:144
	ds_read2_b64 v[4:7], v1 offset0:96 offset1:176
	ds_read2_b64 v[0:3], v2 offset0:128 offset1:208
.LBB0_17:
	s_or_b32 exec_lo, exec_lo, s1
	v_add_f64 v[49:50], v[36:37], v[34:35]
	v_add_f64 v[51:52], v[38:39], v[20:21]
	;; [unrolled: 1-line block ×3, first 2 shown]
	v_add_f64 v[44:45], v[44:45], -v[46:47]
	v_add_f64 v[40:41], v[40:41], -v[42:43]
	;; [unrolled: 1-line block ×4, first 2 shown]
	s_waitcnt lgkmcnt(0)
	s_barrier
	buffer_gl0_inv
	v_fma_f64 v[42:43], v[49:50], -0.5, v[32:33]
	v_fma_f64 v[32:33], v[51:52], -0.5, v[32:33]
	v_add_f64 v[49:50], v[20:21], -v[34:35]
	v_add_f64 v[51:52], v[34:35], -v[20:21]
	v_add_f64 v[36:37], v[55:56], v[36:37]
	v_fma_f64 v[55:56], v[44:45], s[10:11], v[42:43]
	v_fma_f64 v[57:58], v[40:41], s[6:7], v[32:33]
	;; [unrolled: 1-line block ×4, first 2 shown]
	v_add_f64 v[46:47], v[46:47], v[49:50]
	v_add_f64 v[38:39], v[38:39], v[51:52]
	;; [unrolled: 1-line block ×3, first 2 shown]
	v_fma_f64 v[36:37], v[40:41], s[16:17], v[55:56]
	v_fma_f64 v[49:50], v[44:45], s[16:17], v[57:58]
	;; [unrolled: 1-line block ×4, first 2 shown]
	v_add_f64 v[32:33], v[34:35], v[20:21]
	v_fma_f64 v[34:35], v[46:47], s[18:19], v[36:37]
	v_fma_f64 v[36:37], v[38:39], s[18:19], v[49:50]
	v_fma_f64 v[38:39], v[38:39], s[18:19], v[44:45]
	v_fma_f64 v[20:21], v[46:47], s[18:19], v[40:41]
	ds_write2_b64 v48, v[32:33], v[34:35] offset1:16
	ds_write2_b64 v48, v[36:37], v[38:39] offset0:32 offset1:48
	ds_write_b64 v48, v[20:21] offset:512
	s_waitcnt lgkmcnt(0)
	s_barrier
	buffer_gl0_inv
	s_and_saveexec_b32 s1, s0
	s_cbranch_execnz .LBB0_20
; %bb.18:
	s_or_b32 exec_lo, exec_lo, s1
	s_and_b32 s0, vcc_lo, s0
	s_and_saveexec_b32 s1, s0
	s_cbranch_execnz .LBB0_21
.LBB0_19:
	s_endpgm
.LBB0_20:
	v_add_nc_u32_e32 v12, 0x800, v54
	v_add_nc_u32_e32 v13, 0xc00, v54
	;; [unrolled: 1-line block ×3, first 2 shown]
	ds_read2_b64 v[32:35], v54 offset1:80
	ds_read2_b64 v[36:39], v54 offset0:160 offset1:240
	ds_read2_b64 v[20:23], v12 offset0:64 offset1:144
	;; [unrolled: 1-line block ×4, first 2 shown]
	s_or_b32 exec_lo, exec_lo, s1
	s_and_b32 s0, vcc_lo, s0
	s_and_saveexec_b32 s1, s0
	s_cbranch_execz .LBB0_19
.LBB0_21:
	v_mul_u32_u24_e32 v40, 9, v88
	v_mad_u64_u32 v[74:75], null, s2, v88, 0
	v_add_nc_u32_e32 v85, 0x50, v88
	v_add_nc_u32_e32 v86, 0xa0, v88
	v_lshlrev_b32_e32 v48, 4, v40
	v_add_nc_u32_e32 v87, 0xf0, v88
	v_add_nc_u32_e32 v90, 0x140, v88
	;; [unrolled: 1-line block ×4, first 2 shown]
	s_clause 0x4
	global_load_dwordx4 v[44:47], v48, s[8:9] offset:1072
	global_load_dwordx4 v[49:52], v48, s[8:9] offset:1088
	global_load_dwordx4 v[53:56], v48, s[8:9] offset:1104
	global_load_dwordx4 v[57:60], v48, s[8:9] offset:1120
	global_load_dwordx4 v[40:43], v48, s[8:9] offset:1056
	v_mul_lo_u32 v65, s5, v68
	v_mul_lo_u32 v84, s4, v69
	v_mad_u64_u32 v[68:69], null, s4, v68, 0
	v_or_b32_e32 v93, 0x280, v88
	v_mad_u64_u32 v[78:79], null, s2, v92, 0
	global_load_dwordx4 v[61:64], v48, s[8:9] offset:1136
	s_mov_b32 s0, 0x134454ff
	v_mad_u64_u32 v[82:83], null, s2, v93, 0
	v_add3_u32 v69, v69, v84, v65
	s_mov_b32 s1, 0xbfee6f0e
	s_mov_b32 s4, 0x4755a5e
	;; [unrolled: 1-line block ×8, first 2 shown]
	s_waitcnt vmcnt(5)
	v_mul_f64 v[70:71], v[8:9], v[46:47]
	s_waitcnt lgkmcnt(2)
	v_mul_f64 v[46:47], v[20:21], v[46:47]
	s_waitcnt vmcnt(4)
	v_mul_f64 v[72:73], v[22:23], v[51:52]
	s_waitcnt vmcnt(3)
	v_mul_f64 v[76:77], v[4:5], v[55:56]
	s_waitcnt lgkmcnt(1)
	v_mul_f64 v[55:56], v[16:17], v[55:56]
	v_mul_f64 v[51:52], v[10:11], v[51:52]
	v_fma_f64 v[20:21], v[20:21], v[44:45], -v[70:71]
	v_fma_f64 v[44:45], v[8:9], v[44:45], v[46:47]
	s_waitcnt vmcnt(2)
	v_mul_f64 v[8:9], v[18:19], v[59:60]
	v_fma_f64 v[70:71], v[10:11], v[49:50], v[72:73]
	v_mul_f64 v[10:11], v[6:7], v[59:60]
	v_mad_u64_u32 v[46:47], null, s2, v89, 0
	v_fma_f64 v[76:77], v[16:17], v[53:54], -v[76:77]
	v_fma_f64 v[53:54], v[4:5], v[53:54], v[55:56]
	v_mov_b32_e32 v4, v75
	v_fma_f64 v[22:23], v[22:23], v[49:50], -v[51:52]
	v_mad_u64_u32 v[49:50], null, s2, v85, 0
	v_mov_b32_e32 v5, v47
	v_mad_u64_u32 v[51:52], null, s2, v86, 0
	v_mad_u64_u32 v[59:60], null, s2, v87, 0
	;; [unrolled: 1-line block ×4, first 2 shown]
	v_fma_f64 v[80:81], v[6:7], v[57:58], v[8:9]
	v_mad_u64_u32 v[6:7], null, s3, v88, v[4:5]
	v_mov_b32_e32 v4, v50
	v_fma_f64 v[57:58], v[18:19], v[57:58], -v[10:11]
	v_mov_b32_e32 v7, v52
	v_mov_b32_e32 v8, v60
	;; [unrolled: 1-line block ×3, first 2 shown]
	v_mad_u64_u32 v[16:17], null, s3, v85, v[4:5]
	v_mad_u64_u32 v[10:11], null, s3, v89, v[5:6]
	v_mov_b32_e32 v4, v56
	v_mov_b32_e32 v5, v79
	v_mad_u64_u32 v[17:18], null, s3, v86, v[7:8]
	v_mad_u64_u32 v[18:19], null, s3, v87, v[8:9]
	;; [unrolled: 1-line block ×3, first 2 shown]
	v_lshlrev_b64 v[7:8], 4, v[68:69]
	v_mad_u64_u32 v[85:86], null, s3, v91, v[4:5]
	v_mov_b32_e32 v4, v83
	v_mad_u64_u32 v[68:69], null, s3, v92, v[5:6]
	v_add_co_u32 v11, vcc_lo, s14, v7
	v_mad_u64_u32 v[86:87], null, s3, v93, v[4:5]
	v_mov_b32_e32 v75, v6
	global_load_dwordx4 v[4:7], v48, s[8:9] offset:1040
	v_add_co_ci_u32_e32 v19, vcc_lo, s15, v8, vcc_lo
	v_lshlrev_b64 v[8:9], 4, v[66:67]
	v_mov_b32_e32 v47, v10
	v_add_nc_u32_e32 v56, 0x2d0, v88
	v_mov_b32_e32 v50, v16
	v_mov_b32_e32 v52, v17
	;; [unrolled: 1-line block ×3, first 2 shown]
	v_add_co_u32 v92, vcc_lo, v11, v8
	v_add_co_ci_u32_e32 v93, vcc_lo, v19, v9, vcc_lo
	global_load_dwordx4 v[8:11], v48, s[8:9] offset:1152
	v_mad_u64_u32 v[65:66], null, s2, v56, 0
	v_mov_b32_e32 v73, v84
	v_mov_b32_e32 v79, v68
	s_mov_b32 s2, s0
	s_mov_b32 s15, 0x3fe9e377
	;; [unrolled: 1-line block ×3, first 2 shown]
	v_lshlrev_b64 v[59:60], 4, v[59:60]
	v_mov_b32_e32 v16, v66
	v_lshlrev_b64 v[78:79], 4, v[78:79]
	v_mad_u64_u32 v[66:67], null, s3, v56, v[16:17]
	global_load_dwordx4 v[16:19], v48, s[8:9] offset:1024
	v_mov_b32_e32 v56, v85
	s_mov_b32 s3, 0x3fee6f0e
	s_mov_b32 s8, 0x372fe950
	;; [unrolled: 1-line block ×4, first 2 shown]
	v_lshlrev_b64 v[65:66], 4, v[65:66]
	s_waitcnt vmcnt(2)
	v_mul_f64 v[83:84], v[28:29], v[6:7]
	v_mul_f64 v[6:7], v[36:37], v[6:7]
	s_waitcnt vmcnt(1) lgkmcnt(0)
	v_mul_f64 v[67:68], v[14:15], v[10:11]
	v_mul_f64 v[10:11], v[2:3], v[10:11]
	v_fma_f64 v[36:37], v[36:37], v[4:5], -v[83:84]
	v_fma_f64 v[4:5], v[28:29], v[4:5], v[6:7]
	v_mul_f64 v[6:7], v[0:1], v[63:64]
	v_mul_f64 v[28:29], v[12:13], v[63:64]
	;; [unrolled: 1-line block ×3, first 2 shown]
	v_mov_b32_e32 v83, v86
	v_lshlrev_b64 v[82:83], 4, v[82:83]
	v_fma_f64 v[2:3], v[2:3], v[8:9], v[67:68]
	v_fma_f64 v[8:9], v[14:15], v[8:9], -v[10:11]
	v_add_f64 v[10:11], v[20:21], v[76:77]
	v_fma_f64 v[6:7], v[12:13], v[61:62], -v[6:7]
	v_mul_f64 v[12:13], v[30:31], v[42:43]
	v_lshlrev_b64 v[42:43], 4, v[46:47]
	v_lshlrev_b64 v[46:47], 4, v[49:50]
	;; [unrolled: 1-line block ×3, first 2 shown]
	s_waitcnt vmcnt(0)
	v_mul_f64 v[50:51], v[34:35], v[18:19]
	v_fma_f64 v[30:31], v[30:31], v[40:41], v[63:64]
	v_mul_f64 v[18:19], v[26:27], v[18:19]
	v_fma_f64 v[0:1], v[0:1], v[61:62], v[28:29]
	v_lshlrev_b64 v[28:29], 4, v[74:75]
	v_add_f64 v[74:75], v[20:21], -v[36:37]
	v_add_f64 v[88:89], v[80:81], -v[2:3]
	;; [unrolled: 1-line block ×3, first 2 shown]
	v_fma_f64 v[10:11], v[10:11], -0.5, v[32:33]
	v_add_co_u32 v61, vcc_lo, v92, v28
	v_add_co_ci_u32_e32 v62, vcc_lo, v93, v29, vcc_lo
	v_add_f64 v[14:15], v[36:37], v[6:7]
	v_fma_f64 v[12:13], v[38:39], v[40:41], -v[12:13]
	v_add_co_u32 v40, vcc_lo, v92, v42
	v_add_co_ci_u32_e32 v41, vcc_lo, v93, v43, vcc_lo
	v_add_co_u32 v42, vcc_lo, v92, v46
	v_add_co_ci_u32_e32 v43, vcc_lo, v93, v47, vcc_lo
	;; [unrolled: 2-line block ×3, first 2 shown]
	v_fma_f64 v[26:27], v[26:27], v[16:17], v[50:51]
	v_fma_f64 v[16:17], v[34:35], v[16:17], -v[18:19]
	v_add_f64 v[18:19], v[36:37], -v[20:21]
	v_add_f64 v[28:29], v[6:7], -v[76:77]
	;; [unrolled: 1-line block ×6, first 2 shown]
	v_fma_f64 v[14:15], v[14:15], -0.5, v[32:33]
	v_add_f64 v[63:64], v[12:13], -v[22:23]
	v_add_f64 v[32:33], v[32:33], v[36:37]
	v_add_f64 v[90:91], v[22:23], -v[12:13]
	v_add_f64 v[34:35], v[44:45], v[53:54]
	v_add_f64 v[38:39], v[4:5], v[0:1]
	v_add_f64 v[36:37], v[36:37], -v[6:7]
	v_add_f64 v[18:19], v[18:19], v[28:29]
	v_add_f64 v[28:29], v[57:58], -v[8:9]
	;; [unrolled: 2-line block ×7, first 2 shown]
	v_fma_f64 v[34:35], v[34:35], -0.5, v[24:25]
	v_fma_f64 v[38:39], v[38:39], -0.5, v[24:25]
	v_add_f64 v[24:25], v[24:25], v[4:5]
	v_add_f64 v[4:5], v[4:5], -v[0:1]
	v_add_f64 v[28:29], v[90:91], v[28:29]
	v_add_f64 v[90:91], v[70:71], v[80:81]
	;; [unrolled: 1-line block ×9, first 2 shown]
	v_add_f64 v[44:45], v[44:45], -v[53:54]
	v_fma_f64 v[90:91], v[90:91], -0.5, v[26:27]
	v_fma_f64 v[67:68], v[67:68], -0.5, v[16:17]
	;; [unrolled: 1-line block ×3, first 2 shown]
	v_add_f64 v[16:17], v[12:13], v[16:17]
	v_fma_f64 v[76:77], v[76:77], -0.5, v[26:27]
	v_add_f64 v[26:27], v[30:31], v[26:27]
	v_add_f64 v[30:31], v[30:31], -v[2:3]
	v_add_f64 v[24:25], v[24:25], v[53:54]
	v_add_f64 v[12:13], v[12:13], -v[8:9]
	v_lshlrev_b64 v[54:55], 4, v[55:56]
	v_add_f64 v[6:7], v[6:7], v[32:33]
	v_add_f64 v[16:17], v[22:23], v[16:17]
	v_add_f64 v[22:23], v[22:23], -v[57:58]
	v_add_f64 v[26:27], v[70:71], v[26:27]
	v_add_f64 v[69:70], v[70:71], -v[80:81]
	v_fma_f64 v[52:53], v[30:31], s[0:1], v[67:68]
	v_fma_f64 v[67:68], v[30:31], s[2:3], v[67:68]
	v_lshlrev_b64 v[71:72], 4, v[72:73]
	v_add_f64 v[16:17], v[57:58], v[16:17]
	v_add_f64 v[26:27], v[80:81], v[26:27]
	v_fma_f64 v[57:58], v[69:70], s[2:3], v[88:89]
	v_fma_f64 v[88:89], v[69:70], s[0:1], v[88:89]
	;; [unrolled: 1-line block ×6, first 2 shown]
	v_add_f64 v[8:9], v[8:9], v[16:17]
	v_add_f64 v[16:17], v[0:1], v[24:25]
	;; [unrolled: 1-line block ×3, first 2 shown]
	v_fma_f64 v[57:58], v[30:31], s[4:5], v[57:58]
	v_fma_f64 v[30:31], v[30:31], s[6:7], v[88:89]
	;; [unrolled: 1-line block ×12, first 2 shown]
	v_add_f64 v[2:3], v[6:7], -v[8:9]
	v_add_f64 v[6:7], v[6:7], v[8:9]
	v_add_f64 v[0:1], v[16:17], -v[24:25]
	v_fma_f64 v[57:58], v[28:29], s[8:9], v[57:58]
	v_fma_f64 v[28:29], v[28:29], s[8:9], v[30:31]
	;; [unrolled: 1-line block ×20, first 2 shown]
	v_mul_f64 v[44:45], v[52:53], s[10:11]
	v_mul_f64 v[48:49], v[57:58], s[12:13]
	;; [unrolled: 1-line block ×8, first 2 shown]
	v_fma_f64 v[32:33], v[74:75], s[8:9], v[80:81]
	v_fma_f64 v[73:74], v[74:75], s[8:9], v[4:5]
	v_add_f64 v[4:5], v[16:17], v[24:25]
	v_add_co_u32 v58, vcc_lo, v92, v59
	v_add_co_ci_u32_e32 v59, vcc_lo, v93, v60, vcc_lo
	v_fma_f64 v[26:27], v[18:19], s[8:9], v[76:77]
	v_fma_f64 v[75:76], v[18:19], s[8:9], v[10:11]
	;; [unrolled: 1-line block ×14, first 2 shown]
	v_add_co_u32 v69, vcc_lo, v92, v71
	v_add_co_ci_u32_e32 v70, vcc_lo, v93, v72, vcc_lo
	v_add_co_u32 v54, vcc_lo, v92, v54
	v_add_co_ci_u32_e32 v55, vcc_lo, v93, v55, vcc_lo
	v_add_f64 v[10:11], v[26:27], -v[30:31]
	v_add_f64 v[14:15], v[32:33], -v[44:45]
	v_add_f64 v[22:23], v[26:27], v[30:31]
	v_add_f64 v[26:27], v[32:33], v[44:45]
	;; [unrolled: 1-line block ×8, first 2 shown]
	v_add_f64 v[38:39], v[75:76], -v[50:51]
	v_add_f64 v[36:37], v[36:37], -v[63:64]
	;; [unrolled: 1-line block ×6, first 2 shown]
	v_add_co_u32 v44, vcc_lo, v92, v78
	v_add_co_ci_u32_e32 v45, vcc_lo, v93, v79, vcc_lo
	v_add_co_u32 v48, vcc_lo, v92, v82
	v_add_co_ci_u32_e32 v49, vcc_lo, v93, v83, vcc_lo
	;; [unrolled: 2-line block ×3, first 2 shown]
	global_store_dwordx4 v[61:62], v[4:7], off
	global_store_dwordx4 v[42:43], v[32:35], off
	;; [unrolled: 1-line block ×10, first 2 shown]
	s_endpgm
	.section	.rodata,"a",@progbits
	.p2align	6, 0x0
	.amdhsa_kernel fft_rtc_back_len800_factors_16_5_10_wgs_160_tpt_160_halfLds_dp_op_CI_CI_sbrr_dirReg
		.amdhsa_group_segment_fixed_size 0
		.amdhsa_private_segment_fixed_size 0
		.amdhsa_kernarg_size 104
		.amdhsa_user_sgpr_count 6
		.amdhsa_user_sgpr_private_segment_buffer 1
		.amdhsa_user_sgpr_dispatch_ptr 0
		.amdhsa_user_sgpr_queue_ptr 0
		.amdhsa_user_sgpr_kernarg_segment_ptr 1
		.amdhsa_user_sgpr_dispatch_id 0
		.amdhsa_user_sgpr_flat_scratch_init 0
		.amdhsa_user_sgpr_private_segment_size 0
		.amdhsa_wavefront_size32 1
		.amdhsa_uses_dynamic_stack 0
		.amdhsa_system_sgpr_private_segment_wavefront_offset 0
		.amdhsa_system_sgpr_workgroup_id_x 1
		.amdhsa_system_sgpr_workgroup_id_y 0
		.amdhsa_system_sgpr_workgroup_id_z 0
		.amdhsa_system_sgpr_workgroup_info 0
		.amdhsa_system_vgpr_workitem_id 0
		.amdhsa_next_free_vgpr 98
		.amdhsa_next_free_sgpr 31
		.amdhsa_reserve_vcc 1
		.amdhsa_reserve_flat_scratch 0
		.amdhsa_float_round_mode_32 0
		.amdhsa_float_round_mode_16_64 0
		.amdhsa_float_denorm_mode_32 3
		.amdhsa_float_denorm_mode_16_64 3
		.amdhsa_dx10_clamp 1
		.amdhsa_ieee_mode 1
		.amdhsa_fp16_overflow 0
		.amdhsa_workgroup_processor_mode 1
		.amdhsa_memory_ordered 1
		.amdhsa_forward_progress 0
		.amdhsa_shared_vgpr_count 0
		.amdhsa_exception_fp_ieee_invalid_op 0
		.amdhsa_exception_fp_denorm_src 0
		.amdhsa_exception_fp_ieee_div_zero 0
		.amdhsa_exception_fp_ieee_overflow 0
		.amdhsa_exception_fp_ieee_underflow 0
		.amdhsa_exception_fp_ieee_inexact 0
		.amdhsa_exception_int_div_zero 0
	.end_amdhsa_kernel
	.text
.Lfunc_end0:
	.size	fft_rtc_back_len800_factors_16_5_10_wgs_160_tpt_160_halfLds_dp_op_CI_CI_sbrr_dirReg, .Lfunc_end0-fft_rtc_back_len800_factors_16_5_10_wgs_160_tpt_160_halfLds_dp_op_CI_CI_sbrr_dirReg
                                        ; -- End function
	.section	.AMDGPU.csdata,"",@progbits
; Kernel info:
; codeLenInByte = 7360
; NumSgprs: 33
; NumVgprs: 98
; ScratchSize: 0
; MemoryBound: 1
; FloatMode: 240
; IeeeMode: 1
; LDSByteSize: 0 bytes/workgroup (compile time only)
; SGPRBlocks: 4
; VGPRBlocks: 12
; NumSGPRsForWavesPerEU: 33
; NumVGPRsForWavesPerEU: 98
; Occupancy: 9
; WaveLimiterHint : 1
; COMPUTE_PGM_RSRC2:SCRATCH_EN: 0
; COMPUTE_PGM_RSRC2:USER_SGPR: 6
; COMPUTE_PGM_RSRC2:TRAP_HANDLER: 0
; COMPUTE_PGM_RSRC2:TGID_X_EN: 1
; COMPUTE_PGM_RSRC2:TGID_Y_EN: 0
; COMPUTE_PGM_RSRC2:TGID_Z_EN: 0
; COMPUTE_PGM_RSRC2:TIDIG_COMP_CNT: 0
	.text
	.p2alignl 6, 3214868480
	.fill 48, 4, 3214868480
	.type	__hip_cuid_e915f7fbe5171b53,@object ; @__hip_cuid_e915f7fbe5171b53
	.section	.bss,"aw",@nobits
	.globl	__hip_cuid_e915f7fbe5171b53
__hip_cuid_e915f7fbe5171b53:
	.byte	0                               ; 0x0
	.size	__hip_cuid_e915f7fbe5171b53, 1

	.ident	"AMD clang version 19.0.0git (https://github.com/RadeonOpenCompute/llvm-project roc-6.4.0 25133 c7fe45cf4b819c5991fe208aaa96edf142730f1d)"
	.section	".note.GNU-stack","",@progbits
	.addrsig
	.addrsig_sym __hip_cuid_e915f7fbe5171b53
	.amdgpu_metadata
---
amdhsa.kernels:
  - .args:
      - .actual_access:  read_only
        .address_space:  global
        .offset:         0
        .size:           8
        .value_kind:     global_buffer
      - .offset:         8
        .size:           8
        .value_kind:     by_value
      - .actual_access:  read_only
        .address_space:  global
        .offset:         16
        .size:           8
        .value_kind:     global_buffer
      - .actual_access:  read_only
        .address_space:  global
        .offset:         24
        .size:           8
        .value_kind:     global_buffer
      - .actual_access:  read_only
        .address_space:  global
        .offset:         32
        .size:           8
        .value_kind:     global_buffer
      - .offset:         40
        .size:           8
        .value_kind:     by_value
      - .actual_access:  read_only
        .address_space:  global
        .offset:         48
        .size:           8
        .value_kind:     global_buffer
      - .actual_access:  read_only
        .address_space:  global
        .offset:         56
        .size:           8
        .value_kind:     global_buffer
      - .offset:         64
        .size:           4
        .value_kind:     by_value
      - .actual_access:  read_only
        .address_space:  global
        .offset:         72
        .size:           8
        .value_kind:     global_buffer
      - .actual_access:  read_only
        .address_space:  global
        .offset:         80
        .size:           8
        .value_kind:     global_buffer
      - .actual_access:  read_only
        .address_space:  global
        .offset:         88
        .size:           8
        .value_kind:     global_buffer
      - .actual_access:  write_only
        .address_space:  global
        .offset:         96
        .size:           8
        .value_kind:     global_buffer
    .group_segment_fixed_size: 0
    .kernarg_segment_align: 8
    .kernarg_segment_size: 104
    .language:       OpenCL C
    .language_version:
      - 2
      - 0
    .max_flat_workgroup_size: 160
    .name:           fft_rtc_back_len800_factors_16_5_10_wgs_160_tpt_160_halfLds_dp_op_CI_CI_sbrr_dirReg
    .private_segment_fixed_size: 0
    .sgpr_count:     33
    .sgpr_spill_count: 0
    .symbol:         fft_rtc_back_len800_factors_16_5_10_wgs_160_tpt_160_halfLds_dp_op_CI_CI_sbrr_dirReg.kd
    .uniform_work_group_size: 1
    .uses_dynamic_stack: false
    .vgpr_count:     98
    .vgpr_spill_count: 0
    .wavefront_size: 32
    .workgroup_processor_mode: 1
amdhsa.target:   amdgcn-amd-amdhsa--gfx1030
amdhsa.version:
  - 1
  - 2
...

	.end_amdgpu_metadata
